;; amdgpu-corpus repo=ROCm/rocFFT kind=compiled arch=gfx1201 opt=O3
	.text
	.amdgcn_target "amdgcn-amd-amdhsa--gfx1201"
	.amdhsa_code_object_version 6
	.protected	fft_rtc_fwd_len420_factors_10_7_6_wgs_60_tpt_60_half_op_CI_CI_sbrr_dirReg ; -- Begin function fft_rtc_fwd_len420_factors_10_7_6_wgs_60_tpt_60_half_op_CI_CI_sbrr_dirReg
	.globl	fft_rtc_fwd_len420_factors_10_7_6_wgs_60_tpt_60_half_op_CI_CI_sbrr_dirReg
	.p2align	8
	.type	fft_rtc_fwd_len420_factors_10_7_6_wgs_60_tpt_60_half_op_CI_CI_sbrr_dirReg,@function
fft_rtc_fwd_len420_factors_10_7_6_wgs_60_tpt_60_half_op_CI_CI_sbrr_dirReg: ; @fft_rtc_fwd_len420_factors_10_7_6_wgs_60_tpt_60_half_op_CI_CI_sbrr_dirReg
; %bb.0:
	s_clause 0x2
	s_load_b128 s[12:15], s[0:1], 0x18
	s_load_b128 s[8:11], s[0:1], 0x0
	;; [unrolled: 1-line block ×3, first 2 shown]
	v_mul_u32_u24_e32 v1, 0x445, v0
	v_mov_b32_e32 v7, 0
	v_mov_b32_e32 v5, 0
	;; [unrolled: 1-line block ×3, first 2 shown]
	s_wait_kmcnt 0x0
	s_load_b64 s[18:19], s[12:13], 0x0
	s_load_b64 s[16:17], s[14:15], 0x0
	v_lshrrev_b32_e32 v1, 16, v1
	v_cmp_lt_u64_e64 s2, s[10:11], 2
	s_delay_alu instid0(VALU_DEP_2) | instskip(NEXT) | instid1(VALU_DEP_2)
	v_dual_mov_b32 v10, v7 :: v_dual_add_nc_u32 v9, ttmp9, v1
	s_and_b32 vcc_lo, exec_lo, s2
	s_cbranch_vccnz .LBB0_8
; %bb.1:
	s_load_b64 s[2:3], s[0:1], 0x10
	v_mov_b32_e32 v5, 0
	v_mov_b32_e32 v6, 0
	s_delay_alu instid0(VALU_DEP_2)
	v_mov_b32_e32 v1, v5
	s_add_nc_u64 s[20:21], s[14:15], 8
	s_add_nc_u64 s[22:23], s[12:13], 8
	s_mov_b64 s[24:25], 1
	v_mov_b32_e32 v2, v6
	s_wait_kmcnt 0x0
	s_add_nc_u64 s[26:27], s[2:3], 8
	s_mov_b32 s3, 0
.LBB0_2:                                ; =>This Inner Loop Header: Depth=1
	s_load_b64 s[28:29], s[26:27], 0x0
                                        ; implicit-def: $vgpr3_vgpr4
	s_mov_b32 s2, exec_lo
	s_wait_kmcnt 0x0
	v_or_b32_e32 v8, s29, v10
	s_delay_alu instid0(VALU_DEP_1)
	v_cmpx_ne_u64_e32 0, v[7:8]
	s_wait_alu 0xfffe
	s_xor_b32 s30, exec_lo, s2
	s_cbranch_execz .LBB0_4
; %bb.3:                                ;   in Loop: Header=BB0_2 Depth=1
	s_cvt_f32_u32 s2, s28
	s_cvt_f32_u32 s31, s29
	s_sub_nc_u64 s[36:37], 0, s[28:29]
	s_wait_alu 0xfffe
	s_delay_alu instid0(SALU_CYCLE_1) | instskip(SKIP_1) | instid1(SALU_CYCLE_2)
	s_fmamk_f32 s2, s31, 0x4f800000, s2
	s_wait_alu 0xfffe
	v_s_rcp_f32 s2, s2
	s_delay_alu instid0(TRANS32_DEP_1) | instskip(SKIP_1) | instid1(SALU_CYCLE_2)
	s_mul_f32 s2, s2, 0x5f7ffffc
	s_wait_alu 0xfffe
	s_mul_f32 s31, s2, 0x2f800000
	s_wait_alu 0xfffe
	s_delay_alu instid0(SALU_CYCLE_2) | instskip(SKIP_1) | instid1(SALU_CYCLE_2)
	s_trunc_f32 s31, s31
	s_wait_alu 0xfffe
	s_fmamk_f32 s2, s31, 0xcf800000, s2
	s_cvt_u32_f32 s35, s31
	s_wait_alu 0xfffe
	s_delay_alu instid0(SALU_CYCLE_1) | instskip(SKIP_1) | instid1(SALU_CYCLE_2)
	s_cvt_u32_f32 s34, s2
	s_wait_alu 0xfffe
	s_mul_u64 s[38:39], s[36:37], s[34:35]
	s_wait_alu 0xfffe
	s_mul_hi_u32 s41, s34, s39
	s_mul_i32 s40, s34, s39
	s_mul_hi_u32 s2, s34, s38
	s_mul_i32 s33, s35, s38
	s_wait_alu 0xfffe
	s_add_nc_u64 s[40:41], s[2:3], s[40:41]
	s_mul_hi_u32 s31, s35, s38
	s_mul_hi_u32 s42, s35, s39
	s_add_co_u32 s2, s40, s33
	s_wait_alu 0xfffe
	s_add_co_ci_u32 s2, s41, s31
	s_mul_i32 s38, s35, s39
	s_add_co_ci_u32 s39, s42, 0
	s_wait_alu 0xfffe
	s_add_nc_u64 s[38:39], s[2:3], s[38:39]
	s_wait_alu 0xfffe
	v_add_co_u32 v3, s2, s34, s38
	s_delay_alu instid0(VALU_DEP_1) | instskip(SKIP_1) | instid1(VALU_DEP_1)
	s_cmp_lg_u32 s2, 0
	s_add_co_ci_u32 s35, s35, s39
	v_readfirstlane_b32 s34, v3
	s_wait_alu 0xfffe
	s_delay_alu instid0(VALU_DEP_1)
	s_mul_u64 s[36:37], s[36:37], s[34:35]
	s_wait_alu 0xfffe
	s_mul_hi_u32 s39, s34, s37
	s_mul_i32 s38, s34, s37
	s_mul_hi_u32 s2, s34, s36
	s_mul_i32 s33, s35, s36
	s_wait_alu 0xfffe
	s_add_nc_u64 s[38:39], s[2:3], s[38:39]
	s_mul_hi_u32 s31, s35, s36
	s_mul_hi_u32 s34, s35, s37
	s_wait_alu 0xfffe
	s_add_co_u32 s2, s38, s33
	s_add_co_ci_u32 s2, s39, s31
	s_mul_i32 s36, s35, s37
	s_add_co_ci_u32 s37, s34, 0
	s_wait_alu 0xfffe
	s_add_nc_u64 s[36:37], s[2:3], s[36:37]
	s_wait_alu 0xfffe
	v_add_co_u32 v8, s2, v3, s36
	s_delay_alu instid0(VALU_DEP_1) | instskip(SKIP_1) | instid1(VALU_DEP_1)
	s_cmp_lg_u32 s2, 0
	s_add_co_ci_u32 s2, s35, s37
	v_mul_hi_u32 v15, v9, v8
	s_wait_alu 0xfffe
	v_mad_co_u64_u32 v[3:4], null, v9, s2, 0
	v_mad_co_u64_u32 v[11:12], null, v10, v8, 0
	;; [unrolled: 1-line block ×3, first 2 shown]
	s_delay_alu instid0(VALU_DEP_3) | instskip(SKIP_1) | instid1(VALU_DEP_4)
	v_add_co_u32 v3, vcc_lo, v15, v3
	s_wait_alu 0xfffd
	v_add_co_ci_u32_e32 v4, vcc_lo, 0, v4, vcc_lo
	s_delay_alu instid0(VALU_DEP_2) | instskip(SKIP_1) | instid1(VALU_DEP_2)
	v_add_co_u32 v3, vcc_lo, v3, v11
	s_wait_alu 0xfffd
	v_add_co_ci_u32_e32 v3, vcc_lo, v4, v12, vcc_lo
	s_wait_alu 0xfffd
	v_add_co_ci_u32_e32 v4, vcc_lo, 0, v14, vcc_lo
	s_delay_alu instid0(VALU_DEP_2) | instskip(SKIP_1) | instid1(VALU_DEP_2)
	v_add_co_u32 v8, vcc_lo, v3, v13
	s_wait_alu 0xfffd
	v_add_co_ci_u32_e32 v11, vcc_lo, 0, v4, vcc_lo
	s_delay_alu instid0(VALU_DEP_2) | instskip(SKIP_1) | instid1(VALU_DEP_3)
	v_mul_lo_u32 v12, s29, v8
	v_mad_co_u64_u32 v[3:4], null, s28, v8, 0
	v_mul_lo_u32 v13, s28, v11
	s_delay_alu instid0(VALU_DEP_2) | instskip(NEXT) | instid1(VALU_DEP_2)
	v_sub_co_u32 v3, vcc_lo, v9, v3
	v_add3_u32 v4, v4, v13, v12
	s_delay_alu instid0(VALU_DEP_1) | instskip(SKIP_1) | instid1(VALU_DEP_1)
	v_sub_nc_u32_e32 v12, v10, v4
	s_wait_alu 0xfffd
	v_subrev_co_ci_u32_e64 v12, s2, s29, v12, vcc_lo
	v_add_co_u32 v13, s2, v8, 2
	s_wait_alu 0xf1ff
	v_add_co_ci_u32_e64 v14, s2, 0, v11, s2
	v_sub_co_u32 v15, s2, v3, s28
	v_sub_co_ci_u32_e32 v4, vcc_lo, v10, v4, vcc_lo
	s_wait_alu 0xf1ff
	v_subrev_co_ci_u32_e64 v12, s2, 0, v12, s2
	s_delay_alu instid0(VALU_DEP_3) | instskip(NEXT) | instid1(VALU_DEP_3)
	v_cmp_le_u32_e32 vcc_lo, s28, v15
	v_cmp_eq_u32_e64 s2, s29, v4
	s_wait_alu 0xfffd
	v_cndmask_b32_e64 v15, 0, -1, vcc_lo
	v_cmp_le_u32_e32 vcc_lo, s29, v12
	s_wait_alu 0xfffd
	v_cndmask_b32_e64 v16, 0, -1, vcc_lo
	v_cmp_le_u32_e32 vcc_lo, s28, v3
	;; [unrolled: 3-line block ×3, first 2 shown]
	s_wait_alu 0xfffd
	v_cndmask_b32_e64 v17, 0, -1, vcc_lo
	v_cmp_eq_u32_e32 vcc_lo, s29, v12
	s_wait_alu 0xf1ff
	s_delay_alu instid0(VALU_DEP_2)
	v_cndmask_b32_e64 v3, v17, v3, s2
	s_wait_alu 0xfffd
	v_cndmask_b32_e32 v12, v16, v15, vcc_lo
	v_add_co_u32 v15, vcc_lo, v8, 1
	s_wait_alu 0xfffd
	v_add_co_ci_u32_e32 v16, vcc_lo, 0, v11, vcc_lo
	s_delay_alu instid0(VALU_DEP_3) | instskip(SKIP_1) | instid1(VALU_DEP_2)
	v_cmp_ne_u32_e32 vcc_lo, 0, v12
	s_wait_alu 0xfffd
	v_cndmask_b32_e32 v4, v16, v14, vcc_lo
	v_cndmask_b32_e32 v12, v15, v13, vcc_lo
	v_cmp_ne_u32_e32 vcc_lo, 0, v3
	s_wait_alu 0xfffd
	s_delay_alu instid0(VALU_DEP_3) | instskip(NEXT) | instid1(VALU_DEP_3)
	v_cndmask_b32_e32 v4, v11, v4, vcc_lo
	v_cndmask_b32_e32 v3, v8, v12, vcc_lo
.LBB0_4:                                ;   in Loop: Header=BB0_2 Depth=1
	s_wait_alu 0xfffe
	s_and_not1_saveexec_b32 s2, s30
	s_cbranch_execz .LBB0_6
; %bb.5:                                ;   in Loop: Header=BB0_2 Depth=1
	v_cvt_f32_u32_e32 v3, s28
	s_sub_co_i32 s30, 0, s28
	s_delay_alu instid0(VALU_DEP_1) | instskip(NEXT) | instid1(TRANS32_DEP_1)
	v_rcp_iflag_f32_e32 v3, v3
	v_mul_f32_e32 v3, 0x4f7ffffe, v3
	s_delay_alu instid0(VALU_DEP_1) | instskip(SKIP_1) | instid1(VALU_DEP_1)
	v_cvt_u32_f32_e32 v3, v3
	s_wait_alu 0xfffe
	v_mul_lo_u32 v4, s30, v3
	s_delay_alu instid0(VALU_DEP_1) | instskip(NEXT) | instid1(VALU_DEP_1)
	v_mul_hi_u32 v4, v3, v4
	v_add_nc_u32_e32 v3, v3, v4
	s_delay_alu instid0(VALU_DEP_1) | instskip(NEXT) | instid1(VALU_DEP_1)
	v_mul_hi_u32 v3, v9, v3
	v_mul_lo_u32 v4, v3, s28
	v_add_nc_u32_e32 v8, 1, v3
	s_delay_alu instid0(VALU_DEP_2) | instskip(NEXT) | instid1(VALU_DEP_1)
	v_sub_nc_u32_e32 v4, v9, v4
	v_subrev_nc_u32_e32 v11, s28, v4
	v_cmp_le_u32_e32 vcc_lo, s28, v4
	s_wait_alu 0xfffd
	s_delay_alu instid0(VALU_DEP_2) | instskip(NEXT) | instid1(VALU_DEP_1)
	v_dual_cndmask_b32 v4, v4, v11 :: v_dual_cndmask_b32 v3, v3, v8
	v_cmp_le_u32_e32 vcc_lo, s28, v4
	s_delay_alu instid0(VALU_DEP_2) | instskip(SKIP_2) | instid1(VALU_DEP_2)
	v_add_nc_u32_e32 v8, 1, v3
	v_mov_b32_e32 v4, v7
	s_wait_alu 0xfffd
	v_cndmask_b32_e32 v3, v3, v8, vcc_lo
.LBB0_6:                                ;   in Loop: Header=BB0_2 Depth=1
	s_wait_alu 0xfffe
	s_or_b32 exec_lo, exec_lo, s2
	v_mul_lo_u32 v8, v4, s28
	s_delay_alu instid0(VALU_DEP_2)
	v_mul_lo_u32 v13, v3, s29
	s_load_b64 s[30:31], s[22:23], 0x0
	v_mad_co_u64_u32 v[11:12], null, v3, s28, 0
	s_load_b64 s[28:29], s[20:21], 0x0
	s_add_nc_u64 s[24:25], s[24:25], 1
	s_add_nc_u64 s[20:21], s[20:21], 8
	s_wait_alu 0xfffe
	v_cmp_ge_u64_e64 s2, s[24:25], s[10:11]
	s_add_nc_u64 s[22:23], s[22:23], 8
	s_add_nc_u64 s[26:27], s[26:27], 8
	v_add3_u32 v8, v12, v13, v8
	v_sub_co_u32 v9, vcc_lo, v9, v11
	s_wait_alu 0xfffd
	s_delay_alu instid0(VALU_DEP_2) | instskip(SKIP_2) | instid1(VALU_DEP_1)
	v_sub_co_ci_u32_e32 v8, vcc_lo, v10, v8, vcc_lo
	s_and_b32 vcc_lo, exec_lo, s2
	s_wait_kmcnt 0x0
	v_mul_lo_u32 v10, s30, v8
	v_mul_lo_u32 v11, s31, v9
	v_mad_co_u64_u32 v[5:6], null, s30, v9, v[5:6]
	v_mul_lo_u32 v8, s28, v8
	v_mul_lo_u32 v12, s29, v9
	v_mad_co_u64_u32 v[1:2], null, s28, v9, v[1:2]
	s_delay_alu instid0(VALU_DEP_4) | instskip(NEXT) | instid1(VALU_DEP_2)
	v_add3_u32 v6, v11, v6, v10
	v_add3_u32 v2, v12, v2, v8
	s_wait_alu 0xfffe
	s_cbranch_vccnz .LBB0_9
; %bb.7:                                ;   in Loop: Header=BB0_2 Depth=1
	v_dual_mov_b32 v10, v4 :: v_dual_mov_b32 v9, v3
	s_branch .LBB0_2
.LBB0_8:
	v_dual_mov_b32 v1, v5 :: v_dual_mov_b32 v2, v6
	s_delay_alu instid0(VALU_DEP_2)
	v_dual_mov_b32 v3, v9 :: v_dual_mov_b32 v4, v10
.LBB0_9:
	s_load_b64 s[0:1], s[0:1], 0x28
	v_mul_hi_u32 v7, 0x4444445, v0
                                        ; implicit-def: $vgpr19
	s_wait_kmcnt 0x0
	s_delay_alu instid0(VALU_DEP_2) | instskip(SKIP_1) | instid1(VALU_DEP_1)
	v_cmp_gt_u64_e32 vcc_lo, s[0:1], v[3:4]
	v_cmp_le_u64_e64 s0, s[0:1], v[3:4]
	s_and_saveexec_b32 s1, s0
	s_wait_alu 0xfffe
	s_xor_b32 s0, exec_lo, s1
; %bb.10:
	s_delay_alu instid0(VALU_DEP_3) | instskip(NEXT) | instid1(VALU_DEP_1)
	v_mul_u32_u24_e32 v5, 60, v7
                                        ; implicit-def: $vgpr7
	v_sub_nc_u32_e32 v19, v0, v5
                                        ; implicit-def: $vgpr0
                                        ; implicit-def: $vgpr5_vgpr6
; %bb.11:
	s_wait_alu 0xfffe
	s_or_saveexec_b32 s1, s0
	s_lshl_b64 s[2:3], s[10:11], 3
	s_wait_alu 0xfffe
	s_xor_b32 exec_lo, exec_lo, s1
	s_cbranch_execz .LBB0_13
; %bb.12:
	s_add_nc_u64 s[10:11], s[12:13], s[2:3]
	v_mul_u32_u24_e32 v7, 60, v7
	s_load_b64 s[10:11], s[10:11], 0x0
	v_lshlrev_b64_e32 v[5:6], 2, v[5:6]
	s_delay_alu instid0(VALU_DEP_2) | instskip(NEXT) | instid1(VALU_DEP_1)
	v_sub_nc_u32_e32 v19, v0, v7
	v_mad_co_u64_u32 v[7:8], null, s18, v19, 0
	v_add_nc_u32_e32 v18, 60, v19
	v_add_nc_u32_e32 v23, 0x78, v19
	v_add_nc_u32_e32 v24, 0xb4, v19
	s_delay_alu instid0(VALU_DEP_3) | instskip(SKIP_1) | instid1(VALU_DEP_4)
	v_mad_co_u64_u32 v[9:10], null, s18, v18, 0
	v_mov_b32_e32 v0, v8
	v_mad_co_u64_u32 v[11:12], null, s18, v23, 0
	s_wait_kmcnt 0x0
	v_mul_lo_u32 v8, s11, v3
	v_mul_lo_u32 v20, s10, v4
	v_mad_co_u64_u32 v[13:14], null, s10, v3, 0
	v_add_nc_u32_e32 v25, 0xf0, v19
	v_mad_co_u64_u32 v[15:16], null, s19, v19, v[0:1]
	v_mov_b32_e32 v0, v10
	v_mov_b32_e32 v10, v12
	v_mad_co_u64_u32 v[16:17], null, s18, v24, 0
	v_add3_u32 v14, v14, v20, v8
	s_delay_alu instid0(VALU_DEP_4) | instskip(SKIP_2) | instid1(VALU_DEP_4)
	v_mad_co_u64_u32 v[20:21], null, s19, v18, v[0:1]
	v_mov_b32_e32 v8, v15
	v_mad_co_u64_u32 v[21:22], null, s18, v25, 0
	v_lshlrev_b64_e32 v[12:13], 2, v[13:14]
	v_mad_co_u64_u32 v[14:15], null, s19, v23, v[10:11]
	v_mov_b32_e32 v0, v17
	v_mov_b32_e32 v10, v20
	v_add_nc_u32_e32 v18, 0x168, v19
	v_add_co_u32 v15, s0, s4, v12
	s_wait_alu 0xf1ff
	v_add_co_ci_u32_e64 v13, s0, s5, v13, s0
	v_mov_b32_e32 v12, v14
	s_delay_alu instid0(VALU_DEP_3)
	v_add_co_u32 v20, s0, v15, v5
	v_add_nc_u32_e32 v15, 0x12c, v19
	s_wait_alu 0xf1ff
	v_add_co_ci_u32_e64 v26, s0, v13, v6, s0
	v_lshlrev_b64_e32 v[5:6], 2, v[9:10]
	v_mad_co_u64_u32 v[9:10], null, s19, v24, v[0:1]
	v_mov_b32_e32 v0, v22
	v_mad_co_u64_u32 v[13:14], null, s18, v15, 0
	v_lshlrev_b64_e32 v[7:8], 2, v[7:8]
	v_lshlrev_b64_e32 v[10:11], 2, v[11:12]
	s_delay_alu instid0(VALU_DEP_4)
	v_mad_co_u64_u32 v[22:23], null, s19, v25, v[0:1]
	v_mad_co_u64_u32 v[23:24], null, s18, v18, 0
	v_mov_b32_e32 v0, v14
	v_add_co_u32 v7, s0, v20, v7
	s_wait_alu 0xf1ff
	v_add_co_ci_u32_e64 v8, s0, v26, v8, s0
	v_add_co_u32 v5, s0, v20, v5
	v_mov_b32_e32 v17, v9
	v_mad_co_u64_u32 v[14:15], null, s19, v15, v[0:1]
	v_mov_b32_e32 v0, v24
	s_wait_alu 0xf1ff
	v_add_co_ci_u32_e64 v6, s0, v26, v6, s0
	v_add_co_u32 v9, s0, v20, v10
	s_wait_alu 0xf1ff
	v_add_co_ci_u32_e64 v10, s0, v26, v11, s0
	v_lshlrev_b64_e32 v[11:12], 2, v[16:17]
	v_mad_co_u64_u32 v[15:16], null, s19, v18, v[0:1]
	v_lshlrev_b64_e32 v[16:17], 2, v[21:22]
	v_lshlrev_b64_e32 v[13:14], 2, v[13:14]
	s_delay_alu instid0(VALU_DEP_4)
	v_add_co_u32 v11, s0, v20, v11
	s_wait_alu 0xf1ff
	v_add_co_ci_u32_e64 v12, s0, v26, v12, s0
	v_mov_b32_e32 v24, v15
	v_add_co_u32 v15, s0, v20, v16
	s_wait_alu 0xf1ff
	v_add_co_ci_u32_e64 v16, s0, v26, v17, s0
	s_delay_alu instid0(VALU_DEP_3) | instskip(SKIP_3) | instid1(VALU_DEP_3)
	v_lshlrev_b64_e32 v[17:18], 2, v[23:24]
	v_add_co_u32 v13, s0, v20, v13
	s_wait_alu 0xf1ff
	v_add_co_ci_u32_e64 v14, s0, v26, v14, s0
	v_add_co_u32 v17, s0, v20, v17
	s_wait_alu 0xf1ff
	v_add_co_ci_u32_e64 v18, s0, v26, v18, s0
	s_clause 0x6
	global_load_b32 v0, v[7:8], off
	global_load_b32 v5, v[5:6], off
	;; [unrolled: 1-line block ×7, first 2 shown]
	v_lshl_add_u32 v11, v19, 2, 0
	s_delay_alu instid0(VALU_DEP_1)
	v_add_nc_u32_e32 v12, 0x200, v11
	s_wait_loadcnt 0x5
	ds_store_2addr_b32 v11, v0, v5 offset1:60
	s_wait_loadcnt 0x3
	ds_store_2addr_b32 v11, v6, v7 offset0:120 offset1:180
	s_wait_loadcnt 0x1
	ds_store_2addr_b32 v12, v8, v9 offset0:112 offset1:172
	s_wait_loadcnt 0x0
	ds_store_b32 v11, v10 offset:1440
.LBB0_13:
	s_or_b32 exec_lo, exec_lo, s1
	v_lshl_add_u32 v0, v19, 2, 0
	global_wb scope:SCOPE_SE
	s_wait_dscnt 0x0
	s_barrier_signal -1
	s_barrier_wait -1
	global_inv scope:SCOPE_SE
	v_add_nc_u32_e32 v5, 0x200, v0
	v_add_nc_u32_e32 v23, 0x400, v0
	ds_load_2addr_b32 v[15:16], v0 offset0:84 offset1:126
	ds_load_2addr_b32 v[11:12], v0 offset0:168 offset1:210
	s_add_nc_u64 s[2:3], s[14:15], s[2:3]
	ds_load_2addr_b32 v[17:18], v0 offset1:42
	ds_load_2addr_b32 v[13:14], v5 offset0:124 offset1:166
	ds_load_2addr_b32 v[9:10], v23 offset0:80 offset1:122
	s_mov_b32 s1, exec_lo
	global_wb scope:SCOPE_SE
	s_wait_dscnt 0x0
	s_barrier_signal -1
	s_barrier_wait -1
	global_inv scope:SCOPE_SE
	v_lshrrev_b32_e32 v6, 16, v15
	v_lshrrev_b32_e32 v7, 16, v11
	;; [unrolled: 1-line block ×4, first 2 shown]
	v_sub_f16_e32 v8, v15, v11
	v_lshrrev_b32_e32 v24, 16, v17
	v_sub_f16_e32 v25, v9, v13
	v_add_f16_e32 v27, v15, v9
	v_sub_f16_e32 v29, v6, v7
	v_sub_f16_e32 v38, v7, v6
	;; [unrolled: 1-line block ×4, first 2 shown]
	v_add_f16_e32 v7, v7, v26
	v_add_f16_e32 v6, v6, v22
	v_sub_f16_e32 v20, v11, v15
	v_add_f16_e32 v21, v11, v13
	v_sub_f16_e32 v28, v13, v9
	v_sub_f16_e32 v30, v11, v13
	v_add_f16_e32 v31, v8, v25
	v_fma_f16 v25, -0.5, v27, v17
	v_fma_f16 v35, -0.5, v7, v24
	v_fmac_f16_e32 v24, -0.5, v6
	v_sub_f16_e32 v32, v15, v9
	v_fma_f16 v33, -0.5, v21, v17
	v_add_f16_e32 v8, v20, v28
	v_sub_f16_e32 v20, v22, v26
	v_sub_f16_e32 v21, v26, v22
	v_fmamk_f16 v26, v37, 0xbb9c, v25
	v_fmac_f16_e32 v25, 0x3b9c, v37
	v_fmamk_f16 v28, v30, 0x3b9c, v24
	v_fmac_f16_e32 v24, 0xbb9c, v30
	v_add_f16_e32 v6, v38, v21
	v_fmac_f16_e32 v26, 0x38b4, v36
	v_fmac_f16_e32 v25, 0xb8b4, v36
	;; [unrolled: 1-line block ×4, first 2 shown]
	v_add_f16_e32 v34, v29, v20
	v_fmac_f16_e32 v26, 0x34f2, v8
	v_fmac_f16_e32 v25, 0x34f2, v8
	;; [unrolled: 1-line block ×4, first 2 shown]
	v_add_f16_e32 v6, v12, v14
	v_lshrrev_b32_e32 v7, 16, v16
	v_lshrrev_b32_e32 v8, 16, v10
	;; [unrolled: 1-line block ×4, first 2 shown]
	v_add_f16_e32 v22, v16, v10
	v_sub_f16_e32 v39, v10, v14
	v_sub_f16_e32 v40, v16, v12
	v_fma_f16 v38, -0.5, v6, v18
	v_lshrrev_b32_e32 v43, 16, v18
	v_fma_f16 v6, -0.5, v22, v18
	v_add_f16_e32 v22, v20, v21
	v_add_f16_e32 v39, v40, v39
	v_add_f16_e32 v40, v7, v8
	v_sub_f16_e32 v46, v14, v10
	v_sub_f16_e32 v48, v12, v16
	v_fma_f16 v45, -0.5, v22, v43
	v_sub_f16_e32 v47, v12, v14
	v_fmac_f16_e32 v43, -0.5, v40
	v_sub_f16_e32 v41, v20, v21
	v_sub_f16_e32 v42, v7, v8
	v_add_f16_e32 v46, v48, v46
	v_sub_f16_e32 v50, v16, v10
	v_fmamk_f16 v48, v47, 0x3b9c, v43
	v_sub_f16_e32 v40, v20, v7
	v_sub_f16_e32 v49, v21, v8
	v_fmamk_f16 v44, v41, 0xbb9c, v6
	v_fmamk_f16 v22, v42, 0xbb9c, v38
	v_fmac_f16_e32 v6, 0x3b9c, v41
	v_fmac_f16_e32 v48, 0xb8b4, v50
	v_add_f16_e32 v49, v40, v49
	v_sub_f16_e32 v7, v7, v20
	v_sub_f16_e32 v8, v8, v21
	v_fmamk_f16 v20, v50, 0x3b9c, v45
	v_fmac_f16_e32 v43, 0xbb9c, v47
	v_fmac_f16_e32 v44, 0x38b4, v42
	;; [unrolled: 1-line block ×5, first 2 shown]
	v_add_f16_e32 v51, v7, v8
	v_fmac_f16_e32 v20, 0x38b4, v47
	v_fmac_f16_e32 v43, 0x38b4, v50
	v_fmamk_f16 v27, v36, 0xbb9c, v33
	v_fmamk_f16 v29, v32, 0x3b9c, v35
	v_fmac_f16_e32 v44, 0x34f2, v46
	v_mul_f16_e32 v40, 0x3b9c, v48
	v_fmac_f16_e32 v6, 0x34f2, v46
	v_fmac_f16_e32 v22, 0x34f2, v39
	;; [unrolled: 1-line block ×7, first 2 shown]
	v_mul_f16_e32 v7, 0x34f2, v6
	v_mul_f16_e32 v8, 0x3a79, v22
	;; [unrolled: 1-line block ×5, first 2 shown]
	v_fmac_f16_e32 v27, 0x34f2, v31
	v_fmac_f16_e32 v29, 0x34f2, v34
	v_fma_f16 v43, v43, 0x3b9c, -v7
	v_fma_f16 v46, v20, 0x38b4, -v8
	v_fmac_f16_e32 v44, 0x34f2, v48
	v_fma_f16 v48, v6, 0xbb9c, -v21
	v_fma_f16 v49, v22, 0xb8b4, -v49
	v_sub_f16_e32 v6, v26, v40
	v_sub_f16_e32 v7, v25, v43
	;; [unrolled: 1-line block ×6, first 2 shown]
	v_cmpx_gt_u32_e32 42, v19
	s_cbranch_execz .LBB0_15
; %bb.14:
	v_mul_f16_e32 v42, 0x3b9c, v42
	v_mul_f16_e32 v41, 0x38b4, v41
	;; [unrolled: 1-line block ×5, first 2 shown]
	v_add_f16_e32 v38, v38, v42
	v_mul_f16_e32 v39, 0x34f2, v39
	v_mul_f16_e32 v42, 0x38b4, v47
	v_sub_f16_e32 v45, v45, v50
	v_mul_f16_e32 v30, 0x38b4, v30
	v_add_f16_e32 v38, v41, v38
	v_sub_f16_e32 v32, v35, v32
	v_mul_f16_e32 v37, 0x38b4, v37
	v_mul_f16_e32 v41, 0x34f2, v51
	v_sub_f16_e32 v35, v45, v42
	v_add_f16_e32 v38, v39, v38
	v_mul_f16_e32 v34, 0x34f2, v34
	v_add_f16_e32 v33, v33, v36
	v_sub_f16_e32 v30, v32, v30
	v_pk_add_f16 v15, v17, v15
	v_pk_add_f16 v16, v18, v16
	v_add_f16_e32 v32, v41, v35
	v_mul_f16_e32 v35, 0x38b4, v38
	v_mul_f16_e32 v31, 0x34f2, v31
	v_add_f16_e32 v33, v37, v33
	v_add_f16_e32 v30, v34, v30
	v_mul_f16_e32 v34, 0x3a79, v38
	v_pk_add_f16 v11, v15, v11
	v_pk_add_f16 v12, v16, v12
	v_fma_f16 v35, v32, 0x3a79, -v35
	v_add_f16_e32 v17, v31, v33
	v_fmac_f16_e32 v34, 0x38b4, v32
	v_pk_add_f16 v11, v11, v13
	v_pk_add_f16 v12, v12, v14
	v_add_f16_e32 v14, v30, v35
	v_add_f16_e32 v24, v24, v48
	v_sub_f16_e32 v15, v17, v34
	v_pk_add_f16 v9, v11, v9
	v_pk_add_f16 v10, v12, v10
	v_add_f16_e32 v11, v17, v34
	v_add_f16_e32 v13, v28, v44
	;; [unrolled: 1-line block ×6, first 2 shown]
	v_sub_f16_e32 v18, v30, v35
	v_mad_u32_u24 v25, v19, 36, v0
	v_pk_add_f16 v26, v9, v10
	v_pack_b32_f16 v11, v11, v14
	v_pack_b32_f16 v12, v12, v24
	;; [unrolled: 1-line block ×3, first 2 shown]
	v_pk_add_f16 v9, v9, v10 neg_lo:[0,1] neg_hi:[0,1]
	v_pack_b32_f16 v10, v27, v16
	v_pack_b32_f16 v14, v15, v18
	v_perm_b32 v15, v20, v6, 0x5040100
	v_perm_b32 v16, v21, v8, 0x5040100
	;; [unrolled: 1-line block ×3, first 2 shown]
	ds_store_2addr_b32 v25, v26, v11 offset1:1
	ds_store_2addr_b32 v25, v13, v12 offset0:2 offset1:3
	ds_store_2addr_b32 v25, v10, v9 offset0:4 offset1:5
	;; [unrolled: 1-line block ×4, first 2 shown]
.LBB0_15:
	s_wait_alu 0xfffe
	s_or_b32 exec_lo, exec_lo, s1
	v_and_b32_e32 v9, 0xff, v19
	s_load_b64 s[2:3], s[2:3], 0x0
	global_wb scope:SCOPE_SE
	s_wait_dscnt 0x0
	s_wait_kmcnt 0x0
	s_barrier_signal -1
	s_barrier_wait -1
	v_mul_lo_u16 v9, 0xcd, v9
	global_inv scope:SCOPE_SE
	v_cmp_gt_u32_e64 s0, 10, v19
	v_lshrrev_b16 v26, 11, v9
	s_delay_alu instid0(VALU_DEP_1) | instskip(SKIP_1) | instid1(VALU_DEP_2)
	v_mul_lo_u16 v9, v26, 10
	v_and_b32_e32 v26, 0xffff, v26
	v_sub_nc_u16 v9, v19, v9
	s_delay_alu instid0(VALU_DEP_2) | instskip(NEXT) | instid1(VALU_DEP_2)
	v_mul_u32_u24_e32 v26, 0x118, v26
	v_and_b32_e32 v27, 0xff, v9
	s_delay_alu instid0(VALU_DEP_1) | instskip(SKIP_1) | instid1(VALU_DEP_2)
	v_mul_u32_u24_e32 v9, 6, v27
	v_lshlrev_b32_e32 v27, 2, v27
	v_lshlrev_b32_e32 v13, 2, v9
	s_delay_alu instid0(VALU_DEP_2)
	v_add3_u32 v26, 0, v26, v27
	s_clause 0x1
	global_load_b128 v[9:12], v13, s[8:9]
	global_load_b64 v[13:14], v13, s[8:9] offset:16
	ds_load_2addr_b32 v[15:16], v0 offset1:60
	ds_load_2addr_b32 v[17:18], v0 offset0:120 offset1:180
	ds_load_2addr_b32 v[24:25], v5 offset0:112 offset1:172
	ds_load_b32 v5, v0 offset:1440
	global_wb scope:SCOPE_SE
	s_wait_loadcnt_dscnt 0x0
	s_barrier_signal -1
	s_barrier_wait -1
	global_inv scope:SCOPE_SE
	v_lshrrev_b32_e32 v28, 16, v16
	v_lshrrev_b32_e32 v29, 16, v17
	;; [unrolled: 1-line block ×13, first 2 shown]
	v_mul_f16_e32 v40, v27, v28
	v_mul_f16_e32 v27, v27, v16
	;; [unrolled: 1-line block ×12, first 2 shown]
	v_fma_f16 v16, v9, v16, -v40
	v_fmac_f16_e32 v27, v9, v28
	v_fma_f16 v9, v10, v17, -v41
	v_fmac_f16_e32 v35, v10, v29
	;; [unrolled: 2-line block ×3, first 2 shown]
	v_fma_f16 v11, v12, v24, -v43
	v_fma_f16 v5, v14, v5, -v45
	v_fmac_f16_e32 v39, v14, v33
	v_fmac_f16_e32 v37, v12, v31
	v_fma_f16 v12, v13, v25, -v44
	v_fmac_f16_e32 v38, v13, v32
	v_add_f16_e32 v13, v16, v5
	v_add_f16_e32 v14, v27, v39
	v_sub_f16_e32 v5, v16, v5
	v_add_f16_e32 v17, v9, v12
	v_add_f16_e32 v18, v35, v38
	v_sub_f16_e32 v16, v27, v39
	v_sub_f16_e32 v9, v9, v12
	;; [unrolled: 1-line block ×3, first 2 shown]
	v_add_f16_e32 v24, v10, v11
	v_add_f16_e32 v25, v36, v37
	v_sub_f16_e32 v10, v11, v10
	v_sub_f16_e32 v11, v37, v36
	v_add_f16_e32 v27, v17, v13
	v_add_f16_e32 v28, v18, v14
	v_sub_f16_e32 v29, v17, v13
	v_sub_f16_e32 v30, v18, v14
	;; [unrolled: 1-line block ×6, first 2 shown]
	v_add_f16_e32 v31, v10, v9
	v_add_f16_e32 v32, v11, v12
	v_sub_f16_e32 v33, v10, v9
	v_sub_f16_e32 v35, v11, v12
	;; [unrolled: 1-line block ×4, first 2 shown]
	v_add_f16_e32 v24, v24, v27
	v_add_f16_e32 v25, v25, v28
	v_sub_f16_e32 v10, v5, v10
	v_sub_f16_e32 v11, v16, v11
	v_add_f16_e32 v5, v31, v5
	v_add_f16_e32 v16, v32, v16
	v_mul_f16_e32 v13, 0x3a52, v13
	v_mul_f16_e32 v14, 0x3a52, v14
	;; [unrolled: 1-line block ×8, first 2 shown]
	v_add_f16_e32 v15, v24, v15
	v_add_f16_e32 v34, v25, v34
	v_fmamk_f16 v17, v17, 0x2b26, v13
	v_fmamk_f16 v18, v18, 0x2b26, v14
	v_fma_f16 v27, v29, 0x39e0, -v27
	v_fma_f16 v28, v30, 0x39e0, -v28
	;; [unrolled: 1-line block ×4, first 2 shown]
	v_fmamk_f16 v29, v10, 0x3574, v31
	v_fmamk_f16 v30, v11, 0x3574, v32
	v_fma_f16 v9, v9, 0x3b00, -v31
	v_fma_f16 v12, v12, 0x3b00, -v32
	;; [unrolled: 1-line block ×4, first 2 shown]
	v_fmamk_f16 v24, v24, 0xbcab, v15
	v_fmamk_f16 v25, v25, 0xbcab, v34
	v_fmac_f16_e32 v29, 0x370e, v5
	v_fmac_f16_e32 v30, 0x370e, v16
	;; [unrolled: 1-line block ×6, first 2 shown]
	v_add_f16_e32 v5, v17, v24
	v_add_f16_e32 v16, v18, v25
	;; [unrolled: 1-line block ×7, first 2 shown]
	v_sub_f16_e32 v25, v16, v29
	v_add_f16_e32 v27, v11, v13
	v_sub_f16_e32 v28, v14, v10
	v_sub_f16_e32 v31, v17, v12
	v_add_f16_e32 v32, v9, v18
	v_add_f16_e32 v12, v12, v17
	v_sub_f16_e32 v9, v18, v9
	v_sub_f16_e32 v11, v13, v11
	v_add_f16_e32 v10, v10, v14
	v_sub_f16_e32 v5, v5, v30
	v_add_f16_e32 v17, v29, v16
	v_pack_b32_f16 v15, v15, v34
	v_pack_b32_f16 v13, v24, v25
	;; [unrolled: 1-line block ×7, first 2 shown]
	ds_store_2addr_b32 v26, v15, v13 offset1:10
	ds_store_2addr_b32 v26, v14, v16 offset0:20 offset1:30
	ds_store_2addr_b32 v26, v9, v10 offset0:40 offset1:50
	ds_store_b32 v26, v11 offset:240
	global_wb scope:SCOPE_SE
	s_wait_dscnt 0x0
	s_barrier_signal -1
	s_barrier_wait -1
	global_inv scope:SCOPE_SE
	ds_load_2addr_b32 v[11:12], v0 offset1:70
	ds_load_2addr_b32 v[15:16], v0 offset0:140 offset1:210
	ds_load_2addr_b32 v[13:14], v23 offset0:24 offset1:94
                                        ; implicit-def: $vgpr18
                                        ; implicit-def: $vgpr10
                                        ; implicit-def: $vgpr23
	s_and_saveexec_b32 s1, s0
	s_cbranch_execz .LBB0_17
; %bb.16:
	v_add_nc_u32_e32 v7, 0x200, v0
	v_add_nc_u32_e32 v9, 0x400, v0
	ds_load_2addr_b32 v[5:6], v0 offset0:60 offset1:130
	ds_load_2addr_b32 v[7:8], v7 offset0:72 offset1:142
	;; [unrolled: 1-line block ×3, first 2 shown]
	s_wait_dscnt 0x2
	v_lshrrev_b32_e32 v17, 16, v5
	v_lshrrev_b32_e32 v20, 16, v6
	s_wait_dscnt 0x1
	v_lshrrev_b32_e32 v21, 16, v8
	s_wait_dscnt 0x0
	v_lshrrev_b32_e32 v23, 16, v9
	v_lshrrev_b32_e32 v18, 16, v10
	;; [unrolled: 1-line block ×3, first 2 shown]
.LBB0_17:
	s_wait_alu 0xfffe
	s_or_b32 exec_lo, exec_lo, s1
	v_mul_u32_u24_e32 v24, 5, v19
	s_wait_dscnt 0x0
	v_lshrrev_b32_e32 v31, 16, v14
	v_lshrrev_b32_e32 v32, 16, v13
	;; [unrolled: 1-line block ×4, first 2 shown]
	v_lshlrev_b32_e32 v24, 2, v24
	v_lshrrev_b32_e32 v35, 16, v12
	v_lshrrev_b32_e32 v30, 16, v11
	s_clause 0x1
	global_load_b128 v[25:28], v24, s[8:9] offset:240
	global_load_b32 v29, v24, s[8:9] offset:256
	v_add_nc_u32_e32 v24, 0x400, v0
	global_wb scope:SCOPE_SE
	s_wait_loadcnt 0x0
	s_barrier_signal -1
	s_barrier_wait -1
	global_inv scope:SCOPE_SE
	v_lshrrev_b32_e32 v37, 16, v26
	v_lshrrev_b32_e32 v38, 16, v27
	;; [unrolled: 1-line block ×5, first 2 shown]
	v_mul_f16_e32 v42, v37, v34
	v_mul_f16_e32 v37, v37, v15
	;; [unrolled: 1-line block ×10, first 2 shown]
	v_fma_f16 v15, v26, v15, -v42
	v_fmac_f16_e32 v37, v26, v34
	v_fma_f16 v16, v27, v16, -v43
	v_fmac_f16_e32 v38, v27, v33
	;; [unrolled: 2-line block ×5, first 2 shown]
	v_add_f16_e32 v26, v15, v13
	v_add_f16_e32 v29, v37, v39
	;; [unrolled: 1-line block ×5, first 2 shown]
	v_sub_f16_e32 v27, v37, v39
	v_add_f16_e32 v28, v30, v37
	v_sub_f16_e32 v15, v15, v13
	v_add_f16_e32 v31, v12, v16
	v_sub_f16_e32 v33, v38, v40
	v_add_f16_e32 v34, v36, v38
	v_sub_f16_e32 v16, v16, v14
	v_fmac_f16_e32 v11, -0.5, v26
	v_fmac_f16_e32 v30, -0.5, v29
	;; [unrolled: 1-line block ×4, first 2 shown]
	v_add_f16_e32 v13, v25, v13
	v_add_f16_e32 v25, v28, v39
	;; [unrolled: 1-line block ×3, first 2 shown]
	v_fmamk_f16 v28, v27, 0x3aee, v11
	v_fmac_f16_e32 v11, 0xbaee, v27
	v_fmamk_f16 v27, v15, 0xbaee, v30
	v_fmac_f16_e32 v30, 0x3aee, v15
	v_fmamk_f16 v15, v33, 0x3aee, v12
	v_fmamk_f16 v29, v16, 0xbaee, v36
	v_fmac_f16_e32 v12, 0xbaee, v33
	v_fmac_f16_e32 v36, 0x3aee, v16
	v_add_f16_e32 v16, v13, v14
	v_sub_f16_e32 v13, v13, v14
	v_mul_f16_e32 v14, 0x3aee, v29
	v_mul_f16_e32 v33, 0xbaee, v15
	v_add_f16_e32 v26, v34, v40
	v_mul_f16_e32 v32, -0.5, v12
	v_mul_f16_e32 v34, -0.5, v36
	v_fmac_f16_e32 v14, 0.5, v15
	v_fmac_f16_e32 v33, 0.5, v29
	v_add_f16_e32 v31, v25, v26
	v_fmac_f16_e32 v32, 0x3aee, v36
	v_fmac_f16_e32 v34, 0xbaee, v12
	v_sub_f16_e32 v25, v25, v26
	v_add_f16_e32 v15, v28, v14
	v_add_f16_e32 v26, v27, v33
	v_pack_b32_f16 v12, v16, v31
	v_add_f16_e32 v16, v11, v32
	v_add_f16_e32 v29, v30, v34
	v_sub_f16_e32 v14, v28, v14
	v_sub_f16_e32 v11, v11, v32
	;; [unrolled: 1-line block ×4, first 2 shown]
	v_pack_b32_f16 v15, v15, v26
	v_pack_b32_f16 v13, v13, v25
	;; [unrolled: 1-line block ×5, first 2 shown]
	ds_store_2addr_b32 v0, v12, v15 offset1:70
	ds_store_2addr_b32 v0, v16, v13 offset0:140 offset1:210
	ds_store_2addr_b32 v24, v14, v11 offset0:24 offset1:94
	s_and_saveexec_b32 s1, s0
	s_cbranch_execz .LBB0_19
; %bb.18:
	v_add_nc_u32_e32 v11, 60, v19
	v_add_nc_u32_e32 v12, -10, v19
	s_delay_alu instid0(VALU_DEP_1) | instskip(SKIP_1) | instid1(VALU_DEP_2)
	v_cndmask_b32_e64 v11, v12, v11, s0
	v_mov_b32_e32 v12, 0
	v_mul_i32_i24_e32 v11, 5, v11
	s_delay_alu instid0(VALU_DEP_1) | instskip(NEXT) | instid1(VALU_DEP_1)
	v_lshlrev_b64_e32 v[11:12], 2, v[11:12]
	v_add_co_u32 v15, s0, s8, v11
	s_wait_alu 0xf1ff
	s_delay_alu instid0(VALU_DEP_2)
	v_add_co_ci_u32_e64 v16, s0, s9, v12, s0
	s_clause 0x1
	global_load_b128 v[11:14], v[15:16], off offset:240
	global_load_b32 v15, v[15:16], off offset:256
	v_add_nc_u32_e32 v16, 0x200, v0
	s_wait_loadcnt 0x1
	v_lshrrev_b32_e32 v28, 16, v13
	s_wait_loadcnt 0x0
	v_lshrrev_b32_e32 v29, 16, v15
	v_lshrrev_b32_e32 v25, 16, v12
	;; [unrolled: 1-line block ×4, first 2 shown]
	v_mul_f16_e32 v33, v21, v28
	v_mul_f16_e32 v34, v18, v29
	;; [unrolled: 1-line block ×10, first 2 shown]
	v_fma_f16 v8, v8, v13, -v33
	v_fma_f16 v10, v10, v15, -v34
	v_fmac_f16_e32 v28, v21, v13
	v_fmac_f16_e32 v29, v18, v15
	;; [unrolled: 1-line block ×4, first 2 shown]
	v_fma_f16 v6, v6, v11, -v32
	v_fmac_f16_e32 v27, v20, v11
	v_add_f16_e32 v13, v8, v10
	v_add_f16_e32 v18, v28, v29
	v_fma_f16 v7, v7, v12, -v30
	v_fma_f16 v9, v9, v14, -v31
	v_add_f16_e32 v12, v25, v26
	v_sub_f16_e32 v14, v28, v29
	v_sub_f16_e32 v15, v8, v10
	v_add_f16_e32 v20, v17, v25
	v_add_f16_e32 v8, v6, v8
	v_fma_f16 v6, -0.5, v13, v6
	v_fma_f16 v13, -0.5, v18, v27
	v_sub_f16_e32 v11, v7, v9
	v_add_f16_e32 v21, v27, v28
	v_add_f16_e32 v22, v7, v9
	;; [unrolled: 1-line block ×3, first 2 shown]
	v_fma_f16 v12, -0.5, v12, v17
	v_add_f16_e32 v17, v20, v26
	v_add_f16_e32 v8, v8, v10
	v_fmamk_f16 v10, v14, 0xbaee, v6
	v_fmamk_f16 v20, v15, 0x3aee, v13
	v_fmac_f16_e32 v13, 0xbaee, v15
	v_fmac_f16_e32 v6, 0x3aee, v14
	v_add_f16_e32 v18, v21, v29
	v_add_f16_e32 v7, v7, v9
	v_sub_f16_e32 v23, v25, v26
	v_fma_f16 v5, -0.5, v22, v5
	v_mul_f16_e32 v21, 0xbaee, v6
	v_mul_f16_e32 v22, 0x3aee, v13
	v_fmamk_f16 v9, v11, 0x3aee, v12
	v_fmac_f16_e32 v12, 0xbaee, v11
	v_sub_f16_e32 v11, v17, v18
	v_sub_f16_e32 v15, v7, v8
	v_add_f16_e32 v17, v17, v18
	v_mul_f16_e32 v18, -0.5, v20
	v_add_f16_e32 v7, v7, v8
	v_mul_f16_e32 v8, -0.5, v10
	v_fmamk_f16 v14, v23, 0xbaee, v5
	v_fmac_f16_e32 v5, 0x3aee, v23
	v_fmac_f16_e32 v21, 0.5, v13
	v_fmac_f16_e32 v22, 0.5, v6
	v_fmac_f16_e32 v18, 0xbaee, v10
	v_fmac_f16_e32 v8, 0x3aee, v20
	v_pack_b32_f16 v7, v7, v17
	v_sub_f16_e32 v10, v12, v21
	v_add_f16_e32 v12, v12, v21
	v_add_f16_e32 v13, v5, v22
	v_sub_f16_e32 v6, v9, v18
	v_add_f16_e32 v9, v9, v18
	v_add_f16_e32 v17, v14, v8
	v_sub_f16_e32 v5, v5, v22
	v_sub_f16_e32 v8, v14, v8
	v_pack_b32_f16 v12, v13, v12
	v_pack_b32_f16 v11, v15, v11
	;; [unrolled: 1-line block ×5, first 2 shown]
	ds_store_2addr_b32 v0, v7, v12 offset0:60 offset1:130
	ds_store_2addr_b32 v16, v9, v11 offset0:72 offset1:142
	ds_store_2addr_b32 v24, v5, v6 offset0:84 offset1:154
.LBB0_19:
	s_wait_alu 0xfffe
	s_or_b32 exec_lo, exec_lo, s1
	global_wb scope:SCOPE_SE
	s_wait_dscnt 0x0
	s_barrier_signal -1
	s_barrier_wait -1
	global_inv scope:SCOPE_SE
	s_and_saveexec_b32 s0, vcc_lo
	s_cbranch_execz .LBB0_21
; %bb.20:
	v_mul_lo_u32 v11, s2, v4
	v_mad_co_u64_u32 v[4:5], null, s16, v19, 0
	v_add_nc_u32_e32 v13, 60, v19
	v_mul_lo_u32 v10, s3, v3
	v_mad_co_u64_u32 v[6:7], null, s2, v3, 0
	v_add_nc_u32_e32 v16, 0xf0, v19
	v_lshl_add_u32 v20, v19, 2, 0
	v_mov_b32_e32 v0, v5
	v_mad_co_u64_u32 v[8:9], null, s16, v13, 0
	v_add_nc_u32_e32 v15, 0x78, v19
	v_add3_u32 v7, v7, v11, v10
	s_delay_alu instid0(VALU_DEP_4)
	v_mad_co_u64_u32 v[10:11], null, s17, v19, v[0:1]
	v_lshlrev_b64_e32 v[0:1], 2, v[1:2]
	ds_load_2addr_b32 v[11:12], v20 offset1:60
	v_mov_b32_e32 v2, v9
	v_lshlrev_b64_e32 v[6:7], 2, v[6:7]
	v_add_nc_u32_e32 v17, 0x12c, v19
	s_delay_alu instid0(VALU_DEP_3) | instskip(SKIP_1) | instid1(VALU_DEP_4)
	v_mad_co_u64_u32 v[2:3], null, s17, v13, v[2:3]
	v_mad_co_u64_u32 v[13:14], null, s16, v15, 0
	v_add_co_u32 v3, vcc_lo, s6, v6
	v_mov_b32_e32 v5, v10
	s_wait_alu 0xfffd
	v_add_co_ci_u32_e32 v6, vcc_lo, s7, v7, vcc_lo
	v_dual_mov_b32 v9, v2 :: v_dual_add_nc_u32 v10, 0xb4, v19
	v_add_co_u32 v21, vcc_lo, v3, v0
	s_wait_alu 0xfffd
	s_delay_alu instid0(VALU_DEP_3) | instskip(SKIP_4) | instid1(VALU_DEP_3)
	v_add_co_ci_u32_e32 v22, vcc_lo, v6, v1, vcc_lo
	v_mov_b32_e32 v2, v14
	v_lshlrev_b64_e32 v[0:1], 2, v[4:5]
	v_lshlrev_b64_e32 v[3:4], 2, v[8:9]
	v_mad_co_u64_u32 v[8:9], null, s16, v16, 0
	v_add_co_u32 v0, vcc_lo, v21, v0
	s_delay_alu instid0(VALU_DEP_3)
	v_mad_co_u64_u32 v[5:6], null, s17, v15, v[2:3]
	v_mad_co_u64_u32 v[6:7], null, s16, v10, 0
	s_wait_alu 0xfffd
	v_add_co_ci_u32_e32 v1, vcc_lo, v22, v1, vcc_lo
	v_add_co_u32 v2, vcc_lo, v21, v3
	s_wait_alu 0xfffd
	v_add_co_ci_u32_e32 v3, vcc_lo, v22, v4, vcc_lo
	s_delay_alu instid0(VALU_DEP_4)
	v_mov_b32_e32 v4, v7
	v_dual_mov_b32 v14, v5 :: v_dual_mov_b32 v5, v9
	s_wait_dscnt 0x0
	s_clause 0x1
	global_store_b32 v[0:1], v11, off
	global_store_b32 v[2:3], v12, off
	ds_load_2addr_b32 v[0:1], v20 offset0:120 offset1:180
	v_mad_co_u64_u32 v[9:10], null, s17, v10, v[4:5]
	v_mad_co_u64_u32 v[4:5], null, s17, v16, v[5:6]
	;; [unrolled: 1-line block ×3, first 2 shown]
	s_delay_alu instid0(VALU_DEP_3) | instskip(SKIP_1) | instid1(VALU_DEP_4)
	v_mov_b32_e32 v7, v9
	v_lshlrev_b64_e32 v[2:3], 2, v[13:14]
	v_dual_mov_b32 v9, v4 :: v_dual_add_nc_u32 v14, 0x168, v19
	s_delay_alu instid0(VALU_DEP_3) | instskip(NEXT) | instid1(VALU_DEP_2)
	v_lshlrev_b64_e32 v[6:7], 2, v[6:7]
	v_mad_co_u64_u32 v[10:11], null, s16, v14, 0
	v_mov_b32_e32 v4, v16
	v_add_co_u32 v2, vcc_lo, v21, v2
	s_wait_alu 0xfffd
	v_add_co_ci_u32_e32 v3, vcc_lo, v22, v3, vcc_lo
	s_delay_alu instid0(VALU_DEP_3) | instskip(SKIP_2) | instid1(VALU_DEP_2)
	v_mad_co_u64_u32 v[4:5], null, s17, v17, v[4:5]
	v_mov_b32_e32 v5, v11
	v_lshlrev_b64_e32 v[8:9], 2, v[8:9]
	v_mad_co_u64_u32 v[17:18], null, s17, v14, v[5:6]
	v_add_nc_u32_e32 v12, 0x200, v20
	v_mov_b32_e32 v16, v4
	ds_load_b32 v14, v20 offset:1440
	v_add_co_u32 v4, vcc_lo, v21, v6
	s_wait_alu 0xfffd
	v_add_co_ci_u32_e32 v5, vcc_lo, v22, v7, vcc_lo
	v_mov_b32_e32 v11, v17
	ds_load_2addr_b32 v[12:13], v12 offset0:112 offset1:172
	v_lshlrev_b64_e32 v[6:7], 2, v[15:16]
	v_add_co_u32 v8, vcc_lo, v21, v8
	v_lshlrev_b64_e32 v[10:11], 2, v[10:11]
	s_wait_alu 0xfffd
	v_add_co_ci_u32_e32 v9, vcc_lo, v22, v9, vcc_lo
	s_delay_alu instid0(VALU_DEP_4)
	v_add_co_u32 v6, vcc_lo, v21, v6
	s_wait_alu 0xfffd
	v_add_co_ci_u32_e32 v7, vcc_lo, v22, v7, vcc_lo
	v_add_co_u32 v10, vcc_lo, v21, v10
	s_wait_alu 0xfffd
	v_add_co_ci_u32_e32 v11, vcc_lo, v22, v11, vcc_lo
	s_wait_dscnt 0x2
	s_clause 0x1
	global_store_b32 v[2:3], v0, off
	global_store_b32 v[4:5], v1, off
	s_wait_dscnt 0x0
	s_clause 0x2
	global_store_b32 v[8:9], v12, off
	global_store_b32 v[6:7], v13, off
	;; [unrolled: 1-line block ×3, first 2 shown]
.LBB0_21:
	s_nop 0
	s_sendmsg sendmsg(MSG_DEALLOC_VGPRS)
	s_endpgm
	.section	.rodata,"a",@progbits
	.p2align	6, 0x0
	.amdhsa_kernel fft_rtc_fwd_len420_factors_10_7_6_wgs_60_tpt_60_half_op_CI_CI_sbrr_dirReg
		.amdhsa_group_segment_fixed_size 0
		.amdhsa_private_segment_fixed_size 0
		.amdhsa_kernarg_size 104
		.amdhsa_user_sgpr_count 2
		.amdhsa_user_sgpr_dispatch_ptr 0
		.amdhsa_user_sgpr_queue_ptr 0
		.amdhsa_user_sgpr_kernarg_segment_ptr 1
		.amdhsa_user_sgpr_dispatch_id 0
		.amdhsa_user_sgpr_private_segment_size 0
		.amdhsa_wavefront_size32 1
		.amdhsa_uses_dynamic_stack 0
		.amdhsa_enable_private_segment 0
		.amdhsa_system_sgpr_workgroup_id_x 1
		.amdhsa_system_sgpr_workgroup_id_y 0
		.amdhsa_system_sgpr_workgroup_id_z 0
		.amdhsa_system_sgpr_workgroup_info 0
		.amdhsa_system_vgpr_workitem_id 0
		.amdhsa_next_free_vgpr 52
		.amdhsa_next_free_sgpr 43
		.amdhsa_reserve_vcc 1
		.amdhsa_float_round_mode_32 0
		.amdhsa_float_round_mode_16_64 0
		.amdhsa_float_denorm_mode_32 3
		.amdhsa_float_denorm_mode_16_64 3
		.amdhsa_fp16_overflow 0
		.amdhsa_workgroup_processor_mode 1
		.amdhsa_memory_ordered 1
		.amdhsa_forward_progress 0
		.amdhsa_round_robin_scheduling 0
		.amdhsa_exception_fp_ieee_invalid_op 0
		.amdhsa_exception_fp_denorm_src 0
		.amdhsa_exception_fp_ieee_div_zero 0
		.amdhsa_exception_fp_ieee_overflow 0
		.amdhsa_exception_fp_ieee_underflow 0
		.amdhsa_exception_fp_ieee_inexact 0
		.amdhsa_exception_int_div_zero 0
	.end_amdhsa_kernel
	.text
.Lfunc_end0:
	.size	fft_rtc_fwd_len420_factors_10_7_6_wgs_60_tpt_60_half_op_CI_CI_sbrr_dirReg, .Lfunc_end0-fft_rtc_fwd_len420_factors_10_7_6_wgs_60_tpt_60_half_op_CI_CI_sbrr_dirReg
                                        ; -- End function
	.section	.AMDGPU.csdata,"",@progbits
; Kernel info:
; codeLenInByte = 6176
; NumSgprs: 45
; NumVgprs: 52
; ScratchSize: 0
; MemoryBound: 0
; FloatMode: 240
; IeeeMode: 1
; LDSByteSize: 0 bytes/workgroup (compile time only)
; SGPRBlocks: 5
; VGPRBlocks: 6
; NumSGPRsForWavesPerEU: 45
; NumVGPRsForWavesPerEU: 52
; Occupancy: 16
; WaveLimiterHint : 1
; COMPUTE_PGM_RSRC2:SCRATCH_EN: 0
; COMPUTE_PGM_RSRC2:USER_SGPR: 2
; COMPUTE_PGM_RSRC2:TRAP_HANDLER: 0
; COMPUTE_PGM_RSRC2:TGID_X_EN: 1
; COMPUTE_PGM_RSRC2:TGID_Y_EN: 0
; COMPUTE_PGM_RSRC2:TGID_Z_EN: 0
; COMPUTE_PGM_RSRC2:TIDIG_COMP_CNT: 0
	.text
	.p2alignl 7, 3214868480
	.fill 96, 4, 3214868480
	.type	__hip_cuid_9aeeaded78f6f7e3,@object ; @__hip_cuid_9aeeaded78f6f7e3
	.section	.bss,"aw",@nobits
	.globl	__hip_cuid_9aeeaded78f6f7e3
__hip_cuid_9aeeaded78f6f7e3:
	.byte	0                               ; 0x0
	.size	__hip_cuid_9aeeaded78f6f7e3, 1

	.ident	"AMD clang version 19.0.0git (https://github.com/RadeonOpenCompute/llvm-project roc-6.4.0 25133 c7fe45cf4b819c5991fe208aaa96edf142730f1d)"
	.section	".note.GNU-stack","",@progbits
	.addrsig
	.addrsig_sym __hip_cuid_9aeeaded78f6f7e3
	.amdgpu_metadata
---
amdhsa.kernels:
  - .args:
      - .actual_access:  read_only
        .address_space:  global
        .offset:         0
        .size:           8
        .value_kind:     global_buffer
      - .offset:         8
        .size:           8
        .value_kind:     by_value
      - .actual_access:  read_only
        .address_space:  global
        .offset:         16
        .size:           8
        .value_kind:     global_buffer
      - .actual_access:  read_only
        .address_space:  global
        .offset:         24
        .size:           8
        .value_kind:     global_buffer
      - .actual_access:  read_only
        .address_space:  global
        .offset:         32
        .size:           8
        .value_kind:     global_buffer
      - .offset:         40
        .size:           8
        .value_kind:     by_value
      - .actual_access:  read_only
        .address_space:  global
        .offset:         48
        .size:           8
        .value_kind:     global_buffer
      - .actual_access:  read_only
        .address_space:  global
        .offset:         56
        .size:           8
        .value_kind:     global_buffer
      - .offset:         64
        .size:           4
        .value_kind:     by_value
      - .actual_access:  read_only
        .address_space:  global
        .offset:         72
        .size:           8
        .value_kind:     global_buffer
      - .actual_access:  read_only
        .address_space:  global
        .offset:         80
        .size:           8
        .value_kind:     global_buffer
      - .actual_access:  read_only
        .address_space:  global
        .offset:         88
        .size:           8
        .value_kind:     global_buffer
      - .actual_access:  write_only
        .address_space:  global
        .offset:         96
        .size:           8
        .value_kind:     global_buffer
    .group_segment_fixed_size: 0
    .kernarg_segment_align: 8
    .kernarg_segment_size: 104
    .language:       OpenCL C
    .language_version:
      - 2
      - 0
    .max_flat_workgroup_size: 60
    .name:           fft_rtc_fwd_len420_factors_10_7_6_wgs_60_tpt_60_half_op_CI_CI_sbrr_dirReg
    .private_segment_fixed_size: 0
    .sgpr_count:     45
    .sgpr_spill_count: 0
    .symbol:         fft_rtc_fwd_len420_factors_10_7_6_wgs_60_tpt_60_half_op_CI_CI_sbrr_dirReg.kd
    .uniform_work_group_size: 1
    .uses_dynamic_stack: false
    .vgpr_count:     52
    .vgpr_spill_count: 0
    .wavefront_size: 32
    .workgroup_processor_mode: 1
amdhsa.target:   amdgcn-amd-amdhsa--gfx1201
amdhsa.version:
  - 1
  - 2
...

	.end_amdgpu_metadata
